;; amdgpu-corpus repo=ROCm/rocFFT kind=compiled arch=gfx1201 opt=O3
	.text
	.amdgcn_target "amdgcn-amd-amdhsa--gfx1201"
	.amdhsa_code_object_version 6
	.protected	fft_rtc_fwd_len1573_factors_13_11_11_wgs_143_tpt_143_half_ip_CI_unitstride_sbrr_dirReg ; -- Begin function fft_rtc_fwd_len1573_factors_13_11_11_wgs_143_tpt_143_half_ip_CI_unitstride_sbrr_dirReg
	.globl	fft_rtc_fwd_len1573_factors_13_11_11_wgs_143_tpt_143_half_ip_CI_unitstride_sbrr_dirReg
	.p2align	8
	.type	fft_rtc_fwd_len1573_factors_13_11_11_wgs_143_tpt_143_half_ip_CI_unitstride_sbrr_dirReg,@function
fft_rtc_fwd_len1573_factors_13_11_11_wgs_143_tpt_143_half_ip_CI_unitstride_sbrr_dirReg: ; @fft_rtc_fwd_len1573_factors_13_11_11_wgs_143_tpt_143_half_ip_CI_unitstride_sbrr_dirReg
; %bb.0:
	s_clause 0x2
	s_load_b128 s[4:7], s[0:1], 0x0
	s_load_b64 s[8:9], s[0:1], 0x50
	s_load_b64 s[10:11], s[0:1], 0x18
	v_mul_u32_u24_e32 v1, 0x1cb, v0
	v_mov_b32_e32 v3, 0
	s_delay_alu instid0(VALU_DEP_2) | instskip(NEXT) | instid1(VALU_DEP_1)
	v_lshrrev_b32_e32 v1, 16, v1
	v_add_nc_u32_e32 v5, ttmp9, v1
	v_mov_b32_e32 v1, 0
	v_mov_b32_e32 v2, 0
	;; [unrolled: 1-line block ×3, first 2 shown]
	s_wait_kmcnt 0x0
	v_cmp_lt_u64_e64 s2, s[6:7], 2
	s_delay_alu instid0(VALU_DEP_1)
	s_and_b32 vcc_lo, exec_lo, s2
	s_cbranch_vccnz .LBB0_8
; %bb.1:
	s_load_b64 s[2:3], s[0:1], 0x10
	v_mov_b32_e32 v1, 0
	v_mov_b32_e32 v2, 0
	s_add_nc_u64 s[12:13], s[10:11], 8
	s_mov_b64 s[14:15], 1
	s_wait_kmcnt 0x0
	s_add_nc_u64 s[16:17], s[2:3], 8
	s_mov_b32 s3, 0
.LBB0_2:                                ; =>This Inner Loop Header: Depth=1
	s_load_b64 s[18:19], s[16:17], 0x0
                                        ; implicit-def: $vgpr7_vgpr8
	s_mov_b32 s2, exec_lo
	s_wait_kmcnt 0x0
	v_or_b32_e32 v4, s19, v6
	s_delay_alu instid0(VALU_DEP_1)
	v_cmpx_ne_u64_e32 0, v[3:4]
	s_wait_alu 0xfffe
	s_xor_b32 s20, exec_lo, s2
	s_cbranch_execz .LBB0_4
; %bb.3:                                ;   in Loop: Header=BB0_2 Depth=1
	s_cvt_f32_u32 s2, s18
	s_cvt_f32_u32 s21, s19
	s_sub_nc_u64 s[24:25], 0, s[18:19]
	s_wait_alu 0xfffe
	s_delay_alu instid0(SALU_CYCLE_1) | instskip(SKIP_1) | instid1(SALU_CYCLE_2)
	s_fmamk_f32 s2, s21, 0x4f800000, s2
	s_wait_alu 0xfffe
	v_s_rcp_f32 s2, s2
	s_delay_alu instid0(TRANS32_DEP_1) | instskip(SKIP_1) | instid1(SALU_CYCLE_2)
	s_mul_f32 s2, s2, 0x5f7ffffc
	s_wait_alu 0xfffe
	s_mul_f32 s21, s2, 0x2f800000
	s_wait_alu 0xfffe
	s_delay_alu instid0(SALU_CYCLE_2) | instskip(SKIP_1) | instid1(SALU_CYCLE_2)
	s_trunc_f32 s21, s21
	s_wait_alu 0xfffe
	s_fmamk_f32 s2, s21, 0xcf800000, s2
	s_cvt_u32_f32 s23, s21
	s_wait_alu 0xfffe
	s_delay_alu instid0(SALU_CYCLE_1) | instskip(SKIP_1) | instid1(SALU_CYCLE_2)
	s_cvt_u32_f32 s22, s2
	s_wait_alu 0xfffe
	s_mul_u64 s[26:27], s[24:25], s[22:23]
	s_wait_alu 0xfffe
	s_mul_hi_u32 s29, s22, s27
	s_mul_i32 s28, s22, s27
	s_mul_hi_u32 s2, s22, s26
	s_mul_i32 s30, s23, s26
	s_wait_alu 0xfffe
	s_add_nc_u64 s[28:29], s[2:3], s[28:29]
	s_mul_hi_u32 s21, s23, s26
	s_mul_hi_u32 s31, s23, s27
	s_add_co_u32 s2, s28, s30
	s_wait_alu 0xfffe
	s_add_co_ci_u32 s2, s29, s21
	s_mul_i32 s26, s23, s27
	s_add_co_ci_u32 s27, s31, 0
	s_wait_alu 0xfffe
	s_add_nc_u64 s[26:27], s[2:3], s[26:27]
	s_wait_alu 0xfffe
	v_add_co_u32 v4, s2, s22, s26
	s_delay_alu instid0(VALU_DEP_1) | instskip(SKIP_1) | instid1(VALU_DEP_1)
	s_cmp_lg_u32 s2, 0
	s_add_co_ci_u32 s23, s23, s27
	v_readfirstlane_b32 s22, v4
	s_wait_alu 0xfffe
	s_delay_alu instid0(VALU_DEP_1)
	s_mul_u64 s[24:25], s[24:25], s[22:23]
	s_wait_alu 0xfffe
	s_mul_hi_u32 s27, s22, s25
	s_mul_i32 s26, s22, s25
	s_mul_hi_u32 s2, s22, s24
	s_mul_i32 s28, s23, s24
	s_wait_alu 0xfffe
	s_add_nc_u64 s[26:27], s[2:3], s[26:27]
	s_mul_hi_u32 s21, s23, s24
	s_mul_hi_u32 s22, s23, s25
	s_wait_alu 0xfffe
	s_add_co_u32 s2, s26, s28
	s_add_co_ci_u32 s2, s27, s21
	s_mul_i32 s24, s23, s25
	s_add_co_ci_u32 s25, s22, 0
	s_wait_alu 0xfffe
	s_add_nc_u64 s[24:25], s[2:3], s[24:25]
	s_wait_alu 0xfffe
	v_add_co_u32 v4, s2, v4, s24
	s_delay_alu instid0(VALU_DEP_1) | instskip(SKIP_1) | instid1(VALU_DEP_1)
	s_cmp_lg_u32 s2, 0
	s_add_co_ci_u32 s2, s23, s25
	v_mul_hi_u32 v13, v5, v4
	s_wait_alu 0xfffe
	v_mad_co_u64_u32 v[7:8], null, v5, s2, 0
	v_mad_co_u64_u32 v[9:10], null, v6, v4, 0
	;; [unrolled: 1-line block ×3, first 2 shown]
	s_delay_alu instid0(VALU_DEP_3) | instskip(SKIP_1) | instid1(VALU_DEP_4)
	v_add_co_u32 v4, vcc_lo, v13, v7
	s_wait_alu 0xfffd
	v_add_co_ci_u32_e32 v7, vcc_lo, 0, v8, vcc_lo
	s_delay_alu instid0(VALU_DEP_2) | instskip(SKIP_1) | instid1(VALU_DEP_2)
	v_add_co_u32 v4, vcc_lo, v4, v9
	s_wait_alu 0xfffd
	v_add_co_ci_u32_e32 v4, vcc_lo, v7, v10, vcc_lo
	s_wait_alu 0xfffd
	v_add_co_ci_u32_e32 v7, vcc_lo, 0, v12, vcc_lo
	s_delay_alu instid0(VALU_DEP_2) | instskip(SKIP_1) | instid1(VALU_DEP_2)
	v_add_co_u32 v4, vcc_lo, v4, v11
	s_wait_alu 0xfffd
	v_add_co_ci_u32_e32 v9, vcc_lo, 0, v7, vcc_lo
	s_delay_alu instid0(VALU_DEP_2) | instskip(SKIP_1) | instid1(VALU_DEP_3)
	v_mul_lo_u32 v10, s19, v4
	v_mad_co_u64_u32 v[7:8], null, s18, v4, 0
	v_mul_lo_u32 v11, s18, v9
	s_delay_alu instid0(VALU_DEP_2) | instskip(NEXT) | instid1(VALU_DEP_2)
	v_sub_co_u32 v7, vcc_lo, v5, v7
	v_add3_u32 v8, v8, v11, v10
	s_delay_alu instid0(VALU_DEP_1) | instskip(SKIP_1) | instid1(VALU_DEP_1)
	v_sub_nc_u32_e32 v10, v6, v8
	s_wait_alu 0xfffd
	v_subrev_co_ci_u32_e64 v10, s2, s19, v10, vcc_lo
	v_add_co_u32 v11, s2, v4, 2
	s_wait_alu 0xf1ff
	v_add_co_ci_u32_e64 v12, s2, 0, v9, s2
	v_sub_co_u32 v13, s2, v7, s18
	v_sub_co_ci_u32_e32 v8, vcc_lo, v6, v8, vcc_lo
	s_wait_alu 0xf1ff
	v_subrev_co_ci_u32_e64 v10, s2, 0, v10, s2
	s_delay_alu instid0(VALU_DEP_3) | instskip(NEXT) | instid1(VALU_DEP_3)
	v_cmp_le_u32_e32 vcc_lo, s18, v13
	v_cmp_eq_u32_e64 s2, s19, v8
	s_wait_alu 0xfffd
	v_cndmask_b32_e64 v13, 0, -1, vcc_lo
	v_cmp_le_u32_e32 vcc_lo, s19, v10
	s_wait_alu 0xfffd
	v_cndmask_b32_e64 v14, 0, -1, vcc_lo
	v_cmp_le_u32_e32 vcc_lo, s18, v7
	;; [unrolled: 3-line block ×3, first 2 shown]
	s_wait_alu 0xfffd
	v_cndmask_b32_e64 v15, 0, -1, vcc_lo
	v_cmp_eq_u32_e32 vcc_lo, s19, v10
	s_wait_alu 0xf1ff
	s_delay_alu instid0(VALU_DEP_2)
	v_cndmask_b32_e64 v7, v15, v7, s2
	s_wait_alu 0xfffd
	v_cndmask_b32_e32 v10, v14, v13, vcc_lo
	v_add_co_u32 v13, vcc_lo, v4, 1
	s_wait_alu 0xfffd
	v_add_co_ci_u32_e32 v14, vcc_lo, 0, v9, vcc_lo
	s_delay_alu instid0(VALU_DEP_3) | instskip(SKIP_2) | instid1(VALU_DEP_3)
	v_cmp_ne_u32_e32 vcc_lo, 0, v10
	s_wait_alu 0xfffd
	v_cndmask_b32_e32 v10, v13, v11, vcc_lo
	v_cndmask_b32_e32 v8, v14, v12, vcc_lo
	v_cmp_ne_u32_e32 vcc_lo, 0, v7
	s_wait_alu 0xfffd
	s_delay_alu instid0(VALU_DEP_2)
	v_dual_cndmask_b32 v7, v4, v10 :: v_dual_cndmask_b32 v8, v9, v8
.LBB0_4:                                ;   in Loop: Header=BB0_2 Depth=1
	s_wait_alu 0xfffe
	s_and_not1_saveexec_b32 s2, s20
	s_cbranch_execz .LBB0_6
; %bb.5:                                ;   in Loop: Header=BB0_2 Depth=1
	v_cvt_f32_u32_e32 v4, s18
	s_sub_co_i32 s20, 0, s18
	s_delay_alu instid0(VALU_DEP_1) | instskip(NEXT) | instid1(TRANS32_DEP_1)
	v_rcp_iflag_f32_e32 v4, v4
	v_mul_f32_e32 v4, 0x4f7ffffe, v4
	s_delay_alu instid0(VALU_DEP_1) | instskip(SKIP_1) | instid1(VALU_DEP_1)
	v_cvt_u32_f32_e32 v4, v4
	s_wait_alu 0xfffe
	v_mul_lo_u32 v7, s20, v4
	s_delay_alu instid0(VALU_DEP_1) | instskip(NEXT) | instid1(VALU_DEP_1)
	v_mul_hi_u32 v7, v4, v7
	v_add_nc_u32_e32 v4, v4, v7
	s_delay_alu instid0(VALU_DEP_1) | instskip(NEXT) | instid1(VALU_DEP_1)
	v_mul_hi_u32 v4, v5, v4
	v_mul_lo_u32 v7, v4, s18
	v_add_nc_u32_e32 v8, 1, v4
	s_delay_alu instid0(VALU_DEP_2) | instskip(NEXT) | instid1(VALU_DEP_1)
	v_sub_nc_u32_e32 v7, v5, v7
	v_subrev_nc_u32_e32 v9, s18, v7
	v_cmp_le_u32_e32 vcc_lo, s18, v7
	s_wait_alu 0xfffd
	s_delay_alu instid0(VALU_DEP_2) | instskip(NEXT) | instid1(VALU_DEP_1)
	v_dual_cndmask_b32 v7, v7, v9 :: v_dual_cndmask_b32 v4, v4, v8
	v_cmp_le_u32_e32 vcc_lo, s18, v7
	s_delay_alu instid0(VALU_DEP_2) | instskip(SKIP_1) | instid1(VALU_DEP_1)
	v_add_nc_u32_e32 v8, 1, v4
	s_wait_alu 0xfffd
	v_dual_cndmask_b32 v7, v4, v8 :: v_dual_mov_b32 v8, v3
.LBB0_6:                                ;   in Loop: Header=BB0_2 Depth=1
	s_wait_alu 0xfffe
	s_or_b32 exec_lo, exec_lo, s2
	s_load_b64 s[20:21], s[12:13], 0x0
	s_delay_alu instid0(VALU_DEP_1)
	v_mul_lo_u32 v4, v8, s18
	v_mul_lo_u32 v11, v7, s19
	v_mad_co_u64_u32 v[9:10], null, v7, s18, 0
	s_add_nc_u64 s[14:15], s[14:15], 1
	s_add_nc_u64 s[12:13], s[12:13], 8
	s_wait_alu 0xfffe
	v_cmp_ge_u64_e64 s2, s[14:15], s[6:7]
	s_add_nc_u64 s[16:17], s[16:17], 8
	s_delay_alu instid0(VALU_DEP_2) | instskip(NEXT) | instid1(VALU_DEP_3)
	v_add3_u32 v4, v10, v11, v4
	v_sub_co_u32 v5, vcc_lo, v5, v9
	s_wait_alu 0xfffd
	s_delay_alu instid0(VALU_DEP_2) | instskip(SKIP_3) | instid1(VALU_DEP_2)
	v_sub_co_ci_u32_e32 v4, vcc_lo, v6, v4, vcc_lo
	s_and_b32 vcc_lo, exec_lo, s2
	s_wait_kmcnt 0x0
	v_mul_lo_u32 v6, s21, v5
	v_mul_lo_u32 v4, s20, v4
	v_mad_co_u64_u32 v[1:2], null, s20, v5, v[1:2]
	s_delay_alu instid0(VALU_DEP_1)
	v_add3_u32 v2, v6, v2, v4
	s_wait_alu 0xfffe
	s_cbranch_vccnz .LBB0_9
; %bb.7:                                ;   in Loop: Header=BB0_2 Depth=1
	v_dual_mov_b32 v5, v7 :: v_dual_mov_b32 v6, v8
	s_branch .LBB0_2
.LBB0_8:
	v_dual_mov_b32 v8, v6 :: v_dual_mov_b32 v7, v5
.LBB0_9:
	s_lshl_b64 s[2:3], s[6:7], 3
	v_mul_hi_u32 v3, 0x1ca4b31, v0
	s_wait_alu 0xfffe
	s_add_nc_u64 s[2:3], s[10:11], s[2:3]
                                        ; implicit-def: $vgpr28
                                        ; implicit-def: $vgpr15
                                        ; implicit-def: $vgpr27
                                        ; implicit-def: $vgpr14
                                        ; implicit-def: $vgpr26
                                        ; implicit-def: $vgpr13
                                        ; implicit-def: $vgpr25
                                        ; implicit-def: $vgpr12
                                        ; implicit-def: $vgpr24
                                        ; implicit-def: $vgpr11
                                        ; implicit-def: $vgpr23
                                        ; implicit-def: $vgpr10
                                        ; implicit-def: $vgpr16
                                        ; implicit-def: $vgpr17
                                        ; implicit-def: $vgpr18
                                        ; implicit-def: $vgpr20
                                        ; implicit-def: $vgpr21
                                        ; implicit-def: $vgpr22
                                        ; implicit-def: $vgpr9
                                        ; implicit-def: $vgpr19
	s_load_b64 s[2:3], s[2:3], 0x0
	s_load_b64 s[0:1], s[0:1], 0x20
	s_delay_alu instid0(VALU_DEP_1) | instskip(NEXT) | instid1(VALU_DEP_1)
	v_mul_u32_u24_e32 v3, 0x8f, v3
	v_sub_nc_u32_e32 v4, v0, v3
	v_mov_b32_e32 v3, 0
                                        ; implicit-def: $vgpr0
	s_wait_kmcnt 0x0
	v_mul_lo_u32 v5, s2, v8
	v_mul_lo_u32 v6, s3, v7
	v_mad_co_u64_u32 v[1:2], null, s2, v7, v[1:2]
	v_cmp_gt_u64_e32 vcc_lo, s[0:1], v[7:8]
                                        ; implicit-def: $vgpr7
                                        ; implicit-def: $vgpr8
	s_delay_alu instid0(VALU_DEP_2)
	v_add3_u32 v2, v6, v2, v5
                                        ; implicit-def: $vgpr5
                                        ; implicit-def: $vgpr6
	s_and_saveexec_b32 s1, vcc_lo
	s_cbranch_execz .LBB0_13
; %bb.10:
	v_cmp_gt_u32_e64 s0, 0x79, v4
                                        ; implicit-def: $vgpr19
                                        ; implicit-def: $vgpr9
                                        ; implicit-def: $vgpr22
                                        ; implicit-def: $vgpr8
                                        ; implicit-def: $vgpr21
                                        ; implicit-def: $vgpr7
                                        ; implicit-def: $vgpr20
                                        ; implicit-def: $vgpr6
                                        ; implicit-def: $vgpr18
                                        ; implicit-def: $vgpr5
                                        ; implicit-def: $vgpr17
                                        ; implicit-def: $vgpr0
                                        ; implicit-def: $vgpr16
                                        ; implicit-def: $vgpr10
                                        ; implicit-def: $vgpr23
                                        ; implicit-def: $vgpr11
                                        ; implicit-def: $vgpr24
                                        ; implicit-def: $vgpr12
                                        ; implicit-def: $vgpr25
                                        ; implicit-def: $vgpr13
                                        ; implicit-def: $vgpr26
                                        ; implicit-def: $vgpr14
                                        ; implicit-def: $vgpr27
                                        ; implicit-def: $vgpr15
                                        ; implicit-def: $vgpr28
	s_delay_alu instid0(VALU_DEP_1)
	s_and_saveexec_b32 s2, s0
	s_cbranch_execz .LBB0_12
; %bb.11:
	v_mov_b32_e32 v5, 0
	v_lshlrev_b64_e32 v[6:7], 2, v[1:2]
	s_delay_alu instid0(VALU_DEP_2) | instskip(NEXT) | instid1(VALU_DEP_2)
	v_lshlrev_b64_e32 v[8:9], 2, v[4:5]
	v_add_co_u32 v0, s0, s8, v6
	s_wait_alu 0xf1ff
	s_delay_alu instid0(VALU_DEP_3) | instskip(NEXT) | instid1(VALU_DEP_2)
	v_add_co_ci_u32_e64 v3, s0, s9, v7, s0
	v_add_co_u32 v16, s0, v0, v8
	s_wait_alu 0xf1ff
	s_delay_alu instid0(VALU_DEP_2)
	v_add_co_ci_u32_e64 v17, s0, v3, v9, s0
	s_clause 0xc
	global_load_b32 v15, v[16:17], off offset:484
	global_load_b32 v14, v[16:17], off offset:968
	;; [unrolled: 1-line block ×12, first 2 shown]
	global_load_b32 v19, v[16:17], off
	s_wait_loadcnt 0xc
	v_lshrrev_b32_e32 v28, 16, v15
	s_wait_loadcnt 0xb
	v_lshrrev_b32_e32 v27, 16, v14
	;; [unrolled: 2-line block ×12, first 2 shown]
.LBB0_12:
	s_wait_alu 0xfffe
	s_or_b32 exec_lo, exec_lo, s2
	v_mov_b32_e32 v3, v4
.LBB0_13:
	s_wait_alu 0xfffe
	s_or_b32 exec_lo, exec_lo, s1
	s_delay_alu instid0(SALU_CYCLE_1)
	s_mov_b32 s1, exec_lo
	v_cmpx_gt_u32_e32 0x79, v4
	s_cbranch_execz .LBB0_15
; %bb.14:
	v_sub_f16_e32 v47, v15, v0
	v_add_f16_e32 v32, v28, v16
	v_sub_f16_e32 v48, v14, v5
	s_wait_loadcnt 0x0
	v_lshrrev_b32_e32 v29, 16, v19
	v_add_f16_e32 v33, v27, v17
	v_mul_f16_e32 v49, 0xb3a8, v47
	v_sub_f16_e32 v50, v13, v6
	v_mul_f16_e32 v52, 0x3770, v48
	v_add_f16_e32 v30, v26, v18
	v_sub_f16_e32 v51, v12, v7
	v_fmamk_f16 v34, v32, 0xbbc4, v49
	v_mul_f16_e32 v54, 0xb94e, v50
	v_fmamk_f16 v35, v33, 0x3b15, v52
	v_add_f16_e32 v31, v25, v20
	v_sub_f16_e32 v53, v11, v8
	v_add_f16_e32 v36, v34, v29
	v_mul_f16_e32 v56, 0x3a95, v51
	v_fmamk_f16 v37, v30, 0xb9fd, v54
	v_add_f16_e32 v57, v15, v0
	v_add_f16_e32 v34, v24, v21
	;; [unrolled: 1-line block ×3, first 2 shown]
	v_sub_f16_e32 v36, v28, v16
	v_mul_f16_e32 v58, 0xbb7b, v53
	v_fmamk_f16 v38, v31, 0x388b, v56
	v_mul_f16_e32 v59, 0xbbc4, v57
	v_add_f16_e32 v35, v37, v35
	v_add_f16_e32 v60, v14, v5
	v_sub_f16_e32 v37, v27, v17
	v_fmamk_f16 v39, v34, 0xb5ac, v58
	v_add_f16_e32 v62, v13, v6
	v_add_f16_e32 v35, v38, v35
	v_fmamk_f16 v38, v36, 0x33a8, v59
	v_mul_f16_e32 v61, 0x3b15, v60
	v_sub_f16_e32 v55, v10, v9
	v_mul_f16_e32 v64, 0xb9fd, v62
	v_add_f16_e32 v41, v39, v35
	v_add_f16_e32 v38, v38, v19
	v_fmamk_f16 v40, v37, 0xb770, v61
	v_sub_f16_e32 v39, v26, v18
	v_add_f16_e32 v65, v12, v7
	v_mul_f16_e32 v66, 0xb94e, v47
	v_mul_f16_e32 v63, 0x3bf1, v55
	v_add_f16_e32 v35, v23, v22
	v_add_f16_e32 v38, v40, v38
	v_fmamk_f16 v42, v39, 0x394e, v64
	v_mul_f16_e32 v67, 0x388b, v65
	v_sub_f16_e32 v40, v25, v20
	v_fmamk_f16 v43, v32, 0xb9fd, v66
	v_mul_f16_e32 v68, 0x3bf1, v48
	v_fmamk_f16 v44, v35, 0x2fb7, v63
	v_add_f16_e32 v42, v42, v38
	v_fmamk_f16 v45, v40, 0xba95, v67
	v_add_f16_e32 v43, v43, v29
	v_fmamk_f16 v46, v33, 0x2fb7, v68
	v_mul_f16_e32 v69, 0xba95, v50
	v_add_f16_e32 v38, v44, v41
	v_add_f16_e32 v70, v11, v8
	;; [unrolled: 1-line block ×4, first 2 shown]
	v_fmamk_f16 v43, v30, 0x388b, v69
	v_mul_f16_e32 v71, 0x33a8, v51
	v_mul_f16_e32 v72, 0xb5ac, v70
	v_sub_f16_e32 v41, v24, v21
	v_add_f16_e32 v73, v10, v9
	v_add_f16_e32 v43, v43, v42
	v_fmamk_f16 v45, v31, 0xbbc4, v71
	v_mul_f16_e32 v74, 0x3770, v53
	v_fmamk_f16 v46, v41, 0x3b7b, v72
	v_mul_f16_e32 v75, 0x2fb7, v73
	v_sub_f16_e32 v42, v23, v22
	v_add_f16_e32 v43, v45, v43
	v_fmamk_f16 v45, v34, 0x3b15, v74
	v_mul_f16_e32 v76, 0xbb7b, v55
	v_add_f16_e32 v44, v46, v44
	v_fmamk_f16 v46, v42, 0xbbf1, v75
	v_mul_f16_e32 v79, 0xbb7b, v47
	v_add_f16_e32 v45, v45, v43
	v_fmamk_f16 v78, v35, 0xb5ac, v76
	v_mul_f16_e32 v77, 0xb9fd, v57
	v_add_f16_e32 v43, v46, v44
	v_mul_f16_e32 v80, 0x2fb7, v60
	v_mul_f16_e32 v84, 0x3770, v50
	v_add_f16_e32 v44, v78, v45
	v_fmamk_f16 v45, v32, 0xb5ac, v79
	v_mul_f16_e32 v78, 0x394e, v48
	v_fmamk_f16 v46, v36, 0x394e, v77
	v_fmamk_f16 v81, v37, 0xbbf1, v80
	v_mul_f16_e32 v82, 0x388b, v62
	v_add_f16_e32 v45, v45, v29
	v_fmamk_f16 v83, v33, 0xb9fd, v78
	v_add_f16_e32 v46, v46, v19
	v_mul_f16_e32 v85, 0xbbc4, v65
	v_mul_f16_e32 v86, 0xbbf1, v51
	;; [unrolled: 1-line block ×3, first 2 shown]
	v_add_f16_e32 v45, v83, v45
	v_fmamk_f16 v83, v30, 0x3b15, v84
	v_add_f16_e32 v46, v81, v46
	v_fmamk_f16 v81, v39, 0x3a95, v82
	v_mul_f16_e32 v91, 0xb9fd, v60
	v_fmamk_f16 v88, v31, 0x2fb7, v86
	v_add_f16_e32 v45, v83, v45
	v_mul_f16_e32 v83, 0xb5ac, v57
	v_add_f16_e32 v46, v81, v46
	v_fmamk_f16 v81, v40, 0xb3a8, v85
	v_mul_f16_e32 v89, 0x33a8, v53
	v_mul_f16_e32 v92, 0xb5ac, v73
	v_fmamk_f16 v90, v36, 0x3b7b, v83
	v_fmamk_f16 v93, v37, 0xb94e, v91
	v_add_f16_e32 v46, v81, v46
	v_fmamk_f16 v81, v41, 0xb770, v87
	v_mul_f16_e32 v94, 0x3b15, v62
	v_add_f16_e32 v90, v90, v19
	v_add_f16_e32 v45, v88, v45
	v_fmamk_f16 v88, v34, 0xbbc4, v89
	v_mul_f16_e32 v95, 0x3a95, v55
	v_add_f16_e32 v46, v81, v46
	v_fmamk_f16 v81, v42, 0x3b7b, v92
	v_add_f16_e32 v90, v93, v90
	v_fmamk_f16 v93, v39, 0xb770, v94
	v_mul_f16_e32 v96, 0x2fb7, v65
	v_mul_f16_e32 v98, 0xbbf1, v47
	v_add_f16_e32 v88, v88, v45
	v_fmamk_f16 v97, v35, 0x388b, v95
	v_add_f16_e32 v90, v93, v90
	v_fmamk_f16 v93, v40, 0x3bf1, v96
	v_mul_f16_e32 v99, 0xbbc4, v70
	v_add_f16_e32 v45, v81, v46
	v_fmamk_f16 v81, v32, 0x2fb7, v98
	v_mul_f16_e32 v100, 0xb3a8, v48
	v_add_f16_e32 v90, v93, v90
	v_fmamk_f16 v93, v41, 0xb3a8, v99
	v_add_f16_e32 v46, v97, v88
	v_add_f16_e32 v81, v81, v29
	v_fmamk_f16 v88, v33, 0xbbc4, v100
	v_mul_f16_e32 v97, 0x3b7b, v50
	v_mul_f16_e32 v101, 0x2fb7, v57
	v_add_f16_e32 v90, v93, v90
	v_mul_f16_e32 v93, 0x388b, v73
	v_add_f16_e32 v81, v88, v81
	v_fmamk_f16 v88, v30, 0xb5ac, v97
	v_mul_f16_e32 v102, 0x3770, v51
	v_fmamk_f16 v104, v36, 0x3bf1, v101
	v_mul_f16_e32 v105, 0xbbc4, v60
	v_fmamk_f16 v103, v42, 0xba95, v93
	v_add_f16_e32 v81, v88, v81
	v_fmamk_f16 v88, v31, 0x3b15, v102
	v_mul_f16_e32 v106, 0xba95, v53
	v_add_f16_e32 v104, v104, v19
	v_fmamk_f16 v107, v37, 0x33a8, v105
	v_mul_f16_e32 v108, 0xb5ac, v62
	v_mul_f16_e32 v110, 0xba95, v47
	v_add_f16_e32 v81, v88, v81
	v_fmamk_f16 v88, v34, 0x388b, v106
	v_mul_f16_e32 v109, 0xb94e, v55
	v_add_f16_e32 v104, v107, v104
	v_fmamk_f16 v107, v39, 0xbb7b, v108
	;; [unrolled: 3-line block ×4, first 2 shown]
	v_add_f16_e32 v104, v107, v104
	v_fmamk_f16 v107, v40, 0xb770, v111
	v_mul_f16_e32 v113, 0x388b, v70
	v_add_f16_e32 v103, v103, v29
	v_fmamk_f16 v114, v33, 0xb5ac, v112
	v_mul_f16_e32 v115, 0xb3a8, v50
	v_add_f16_e32 v81, v88, v81
	v_add_f16_e32 v88, v107, v104
	v_fmamk_f16 v104, v41, 0x3a95, v113
	v_add_f16_e32 v103, v114, v103
	v_fmamk_f16 v107, v30, 0xbbc4, v115
	v_mul_f16_e32 v114, 0x394e, v51
	v_mul_f16_e32 v117, 0x388b, v57
	;; [unrolled: 1-line block ×3, first 2 shown]
	v_add_f16_e32 v88, v104, v88
	v_add_f16_e32 v103, v107, v103
	v_fmamk_f16 v104, v31, 0xb9fd, v114
	v_mul_f16_e32 v107, 0x3bf1, v53
	v_fmamk_f16 v118, v36, 0x3a95, v117
	v_mul_f16_e32 v119, 0xb5ac, v60
	v_fmamk_f16 v120, v42, 0x394e, v116
	v_add_f16_e32 v103, v104, v103
	v_fmamk_f16 v104, v34, 0x2fb7, v107
	v_add_f16_e32 v118, v118, v19
	v_fmamk_f16 v121, v37, 0x3b7b, v119
	v_mul_f16_e32 v122, 0xbbc4, v62
	v_mul_f16_e32 v47, 0xb770, v47
	v_add_f16_e32 v88, v120, v88
	v_add_f16_e32 v103, v104, v103
	v_add_f16_e32 v104, v121, v118
	v_fmamk_f16 v118, v39, 0x33a8, v122
	v_mul_f16_e32 v120, 0xb9fd, v65
	v_fmamk_f16 v123, v32, 0x3b15, v47
	v_mul_f16_e32 v48, 0xba95, v48
	v_mul_f16_e32 v124, 0x2fb7, v70
	v_add_f16_e32 v104, v118, v104
	v_fmamk_f16 v118, v40, 0xb94e, v120
	v_add_f16_e32 v123, v123, v29
	v_fmamk_f16 v125, v33, 0x388b, v48
	v_mul_f16_e32 v50, 0xbbf1, v50
	v_mul_f16_e32 v51, 0xbb7b, v51
	v_add_f16_e32 v104, v118, v104
	v_fmamk_f16 v118, v41, 0xbbf1, v124
	v_add_f16_e32 v123, v125, v123
	v_fmamk_f16 v125, v30, 0x2fb7, v50
	v_mul_f16_e32 v57, 0x3b15, v57
	v_mul_f16_e32 v53, 0xb94e, v53
	v_add_f16_e32 v104, v118, v104
	v_mul_f16_e32 v60, 0x388b, v60
	v_add_f16_e32 v118, v125, v123
	v_fmamk_f16 v123, v31, 0xb5ac, v51
	v_fmamk_f16 v125, v36, 0x3770, v57
	v_mul_f16_e32 v62, 0x2fb7, v62
	v_fmamk_f16 v127, v37, 0x3a95, v60
	v_mul_f16_e32 v121, 0x3770, v55
	v_add_f16_e32 v118, v123, v118
	v_fmamk_f16 v123, v34, 0xb9fd, v53
	v_add_f16_e32 v125, v125, v19
	v_mul_f16_e32 v65, 0xb5ac, v65
	v_fmamk_f16 v126, v35, 0x3b15, v121
	v_fma_f16 v49, v32, 0xbbc4, -v49
	v_add_f16_e32 v118, v123, v118
	v_add_f16_e32 v123, v127, v125
	v_fmamk_f16 v125, v39, 0x3bf1, v62
	v_mul_f16_e32 v70, 0xb9fd, v70
	v_add_f16_e32 v103, v126, v103
	v_mul_f16_e32 v126, 0x3b15, v73
	v_add_f16_e32 v49, v49, v29
	v_add_f16_e32 v123, v125, v123
	v_fmamk_f16 v125, v40, 0x3b7b, v65
	v_fma_f16 v52, v33, 0x3b15, -v52
	v_fmac_f16_e32 v59, 0xb3a8, v36
	v_mul_f16_e32 v73, 0xbbc4, v73
	v_fmac_f16_e32 v61, 0x3770, v37
	v_add_f16_e32 v123, v125, v123
	v_fmamk_f16 v125, v41, 0x394e, v70
	v_add_f16_e32 v49, v52, v49
	v_fma_f16 v52, v30, 0xb9fd, -v54
	v_add_f16_e32 v54, v59, v19
	v_fmac_f16_e32 v77, 0xb94e, v36
	v_add_f16_e32 v59, v125, v123
	v_fmamk_f16 v123, v42, 0x33a8, v73
	v_add_f16_e32 v49, v52, v49
	v_fma_f16 v52, v31, 0x388b, -v56
	v_add_f16_e32 v54, v61, v54
	v_add_f16_e32 v61, v77, v19
	v_add_f16_e32 v56, v123, v59
	v_fma_f16 v59, v32, 0xb9fd, -v66
	v_add_f16_e32 v49, v52, v49
	v_fma_f16 v52, v34, 0xb5ac, -v58
	v_fmac_f16_e32 v80, 0x3bf1, v37
	v_fmac_f16_e32 v64, 0xb94e, v39
	v_add_f16_e32 v58, v59, v29
	v_fma_f16 v59, v33, 0x2fb7, -v68
	v_add_f16_e32 v49, v52, v49
	v_fma_f16 v52, v35, 0x2fb7, -v63
	v_fmac_f16_e32 v83, 0xbb7b, v36
	v_add_f16_e32 v54, v64, v54
	v_add_f16_e32 v58, v59, v58
	v_fma_f16 v59, v30, 0x388b, -v69
	v_add_f16_e32 v49, v52, v49
	v_fma_f16 v63, v35, 0xb5ac, -v76
	v_add_f16_e32 v64, v83, v19
	v_fmac_f16_e32 v91, 0x394e, v37
	v_add_f16_e32 v52, v59, v58
	v_fma_f16 v58, v31, 0xbbc4, -v71
	v_add_f16_e32 v59, v80, v61
	v_fma_f16 v61, v32, 0xb5ac, -v79
	v_fma_f16 v66, v33, 0xbbc4, -v100
	;; [unrolled: 1-line block ×3, first 2 shown]
	v_add_f16_e32 v52, v58, v52
	v_fma_f16 v58, v34, 0x3b15, -v74
	v_add_f16_e32 v28, v28, v29
	v_add_f16_e32 v15, v15, v19
	v_fmac_f16_e32 v67, 0x3a95, v40
	v_fmac_f16_e32 v101, 0xbbf1, v36
	v_add_f16_e32 v52, v58, v52
	v_add_f16_e32 v58, v61, v29
	v_fma_f16 v61, v33, 0xb9fd, -v78
	v_add_f16_e32 v27, v27, v28
	v_add_f16_e32 v14, v14, v15
	;; [unrolled: 1-line block ×5, first 2 shown]
	v_fma_f16 v61, v30, 0x3b15, -v84
	v_fma_f16 v64, v34, 0xbbc4, -v89
	;; [unrolled: 1-line block ×3, first 2 shown]
	v_add_f16_e32 v26, v26, v27
	v_add_f16_e32 v13, v13, v14
	;; [unrolled: 1-line block ×3, first 2 shown]
	v_fma_f16 v61, v31, 0x2fb7, -v86
	v_add_f16_e32 v54, v67, v54
	v_add_f16_e32 v25, v25, v26
	;; [unrolled: 1-line block ×5, first 2 shown]
	v_fma_f16 v61, v32, 0x2fb7, -v98
	v_fmac_f16_e32 v105, 0xb3a8, v37
	v_add_f16_e32 v11, v11, v12
	v_fmac_f16_e32 v108, 0x3b7b, v39
	v_add_f16_e32 v58, v64, v58
	v_add_f16_e32 v61, v61, v29
	v_fma_f16 v64, v31, 0x3b15, -v102
	v_add_f16_e32 v67, v105, v67
	v_add_f16_e32 v10, v10, v11
	v_fmac_f16_e32 v117, 0xba95, v36
	v_add_f16_e32 v61, v66, v61
	v_fma_f16 v66, v30, 0xb5ac, -v97
	v_fmac_f16_e32 v57, 0xb770, v36
	v_add_f16_e32 v9, v9, v10
	v_fmac_f16_e32 v119, 0xbb7b, v37
	v_fmac_f16_e32 v60, 0xba95, v37
	v_add_f16_e32 v61, v66, v61
	v_add_f16_e32 v66, v108, v67
	v_fma_f16 v67, v35, 0x388b, -v95
	v_add_f16_e32 v8, v8, v9
	v_add_f16_e32 v10, v57, v19
	;; [unrolled: 1-line block ×3, first 2 shown]
	v_fma_f16 v64, v34, 0x388b, -v106
	v_add_f16_e32 v58, v67, v58
	v_fma_f16 v67, v35, 0xb9fd, -v109
	v_fma_f16 v9, v30, 0x2fb7, -v50
	v_add_f16_e32 v7, v7, v8
	v_add_f16_e32 v61, v64, v61
	v_fma_f16 v64, v32, 0x388b, -v110
	v_fmac_f16_e32 v82, 0xba95, v39
	v_fmac_f16_e32 v94, 0x3770, v39
	;; [unrolled: 1-line block ×3, first 2 shown]
	v_add_f16_e32 v61, v67, v61
	v_add_f16_e32 v64, v64, v29
	;; [unrolled: 1-line block ×4, first 2 shown]
	v_fmac_f16_e32 v62, 0xbbf1, v39
	v_add_f16_e32 v6, v6, v7
	v_add_f16_e32 v64, v68, v64
	v_fma_f16 v68, v30, 0xbbc4, -v115
	v_add_f16_e32 v67, v119, v67
	v_add_f16_e32 v59, v82, v59
	v_fmac_f16_e32 v85, 0x33a8, v40
	v_add_f16_e32 v63, v94, v63
	v_add_f16_e32 v64, v68, v64
	v_fmac_f16_e32 v96, 0xbbf1, v40
	v_fmac_f16_e32 v111, 0x3770, v40
	v_add_f16_e32 v28, v122, v67
	v_fmac_f16_e32 v120, 0x394e, v40
	v_add_f16_e32 v14, v15, v64
	v_fma_f16 v15, v34, 0x2fb7, -v107
	v_add_f16_e32 v10, v62, v10
	v_fmac_f16_e32 v65, 0xbb7b, v40
	v_add_f16_e32 v5, v5, v6
	v_mul_f16_e32 v55, 0xb3a8, v55
	v_add_f16_e32 v13, v15, v14
	v_add_f16_e32 v15, v24, v25
	v_fma_f16 v24, v32, 0x3b15, -v47
	v_fmac_f16_e32 v72, 0xbb7b, v41
	v_add_f16_e32 v59, v85, v59
	v_fmac_f16_e32 v87, 0x3770, v41
	v_add_f16_e32 v15, v23, v15
	v_add_f16_e32 v11, v24, v29
	v_fma_f16 v23, v33, 0x388b, -v48
	v_add_f16_e32 v63, v96, v63
	v_fmac_f16_e32 v99, 0x33a8, v41
	v_add_f16_e32 v15, v22, v15
	v_add_f16_e32 v66, v111, v66
	;; [unrolled: 1-line block ×3, first 2 shown]
	v_fmac_f16_e32 v113, 0xba95, v41
	v_add_f16_e32 v27, v120, v28
	v_add_f16_e32 v15, v21, v15
	v_fmac_f16_e32 v124, 0x3bf1, v41
	v_add_f16_e32 v8, v9, v11
	v_fma_f16 v9, v31, 0xb5ac, -v51
	v_add_f16_e32 v6, v65, v10
	v_add_f16_e32 v15, v20, v15
	v_fmac_f16_e32 v70, 0xb94e, v41
	v_add_f16_e32 v0, v0, v5
	v_add_f16_e32 v7, v9, v8
	v_fma_f16 v8, v34, 0xb9fd, -v53
	v_add_f16_e32 v11, v18, v15
	v_fma_f16 v128, 0xb770, v42, v126
	v_fmamk_f16 v127, v35, 0xbbc4, v55
	v_add_f16_e32 v54, v72, v54
	v_add_f16_e32 v7, v8, v7
	;; [unrolled: 1-line block ×3, first 2 shown]
	v_fmac_f16_e32 v75, 0x3bf1, v42
	v_add_f16_e32 v59, v87, v59
	v_fmac_f16_e32 v92, 0xbb7b, v42
	v_add_f16_e32 v63, v99, v63
	v_add_f16_e32 v8, v16, v9
	v_fmac_f16_e32 v93, 0x3a95, v42
	v_add_f16_e32 v66, v113, v66
	v_fmac_f16_e32 v116, 0xb94e, v42
	v_fma_f16 v14, v35, 0x3b15, -v121
	v_add_f16_e32 v12, v124, v27
	v_fmac_f16_e32 v126, 0x3770, v42
	v_fma_f16 v5, v35, 0xbbc4, -v55
	v_add_f16_e32 v6, v70, v6
	v_fmac_f16_e32 v73, 0xb3a8, v42
	v_lshlrev_b32_e32 v8, 16, v8
	v_and_b32_e32 v0, 0xffff, v0
	v_add_f16_e64 v104, v128, v104
	v_add_f16_e32 v118, v127, v118
	v_add_f16_e32 v54, v75, v54
	;; [unrolled: 1-line block ×9, first 2 shown]
	v_or_b32_e32 v0, v8, v0
	v_mad_u32_u24 v7, v4, 52, 0
	v_pack_b32_f16 v8, v104, v103
	v_pack_b32_f16 v11, v56, v118
	;; [unrolled: 1-line block ×12, first 2 shown]
	ds_store_b32 v7, v0
	ds_store_2addr_b32 v7, v11, v8 offset0:1 offset1:2
	ds_store_2addr_b32 v7, v13, v12 offset0:3 offset1:4
	;; [unrolled: 1-line block ×6, first 2 shown]
.LBB0_15:
	s_wait_alu 0xfffe
	s_or_b32 exec_lo, exec_lo, s1
	v_and_b32_e32 v0, 0xff, v4
	global_wb scope:SCOPE_SE
	s_wait_loadcnt_dscnt 0x0
	s_barrier_signal -1
	s_barrier_wait -1
	global_inv scope:SCOPE_SE
	v_mul_lo_u16 v0, 0x4f, v0
	v_lshl_add_u32 v8, v4, 2, 0
	s_delay_alu instid0(VALU_DEP_2) | instskip(NEXT) | instid1(VALU_DEP_2)
	v_lshrrev_b16 v29, 10, v0
	v_add_nc_u32_e32 v9, 0x1100, v8
	v_add_nc_u32_e32 v10, 0x400, v8
	;; [unrolled: 1-line block ×3, first 2 shown]
	s_delay_alu instid0(VALU_DEP_4) | instskip(SKIP_1) | instid1(VALU_DEP_2)
	v_mul_lo_u16 v0, v29, 13
	v_and_b32_e32 v29, 0xffff, v29
	v_sub_nc_u16 v0, v4, v0
	s_delay_alu instid0(VALU_DEP_2) | instskip(NEXT) | instid1(VALU_DEP_2)
	v_mul_u32_u24_e32 v29, 0x23c, v29
	v_and_b32_e32 v30, 0xff, v0
	s_delay_alu instid0(VALU_DEP_1) | instskip(SKIP_1) | instid1(VALU_DEP_2)
	v_mul_u32_u24_e32 v0, 10, v30
	v_lshlrev_b32_e32 v30, 2, v30
	v_lshlrev_b32_e32 v0, 2, v0
	s_delay_alu instid0(VALU_DEP_2)
	v_add3_u32 v29, 0, v29, v30
	s_clause 0x2
	global_load_b128 v[11:14], v0, s[4:5]
	global_load_b128 v[15:18], v0, s[4:5] offset:16
	global_load_b64 v[19:20], v0, s[4:5] offset:32
	v_add_nc_u32_e32 v0, 0xc00, v8
	ds_load_b32 v31, v8 offset:5720
	ds_load_2addr_b32 v[5:6], v8 offset1:143
	ds_load_2addr_b32 v[21:22], v0 offset0:90 offset1:233
	ds_load_2addr_b32 v[23:24], v9 offset0:56 offset1:199
	;; [unrolled: 1-line block ×4, first 2 shown]
	global_wb scope:SCOPE_SE
	s_wait_loadcnt_dscnt 0x0
	s_barrier_signal -1
	s_barrier_wait -1
	global_inv scope:SCOPE_SE
	v_lshrrev_b32_e32 v32, 16, v31
	v_lshrrev_b32_e32 v33, 16, v6
	;; [unrolled: 1-line block ×21, first 2 shown]
	v_mul_f16_e32 v52, v30, v33
	v_mul_f16_e32 v30, v30, v6
	;; [unrolled: 1-line block ×20, first 2 shown]
	v_fma_f16 v6, v11, v6, -v52
	v_fmac_f16_e32 v30, v11, v33
	v_fma_f16 v11, v12, v25, -v53
	v_fmac_f16_e32 v43, v12, v39
	;; [unrolled: 2-line block ×8, first 2 shown]
	v_fma_f16 v18, v24, v19, -v60
	v_fma_f16 v21, v31, v20, -v61
	v_fmac_f16_e32 v51, v32, v20
	v_fmac_f16_e32 v50, v38, v19
	v_add_f16_e32 v19, v6, v5
	v_add_f16_e32 v20, v30, v34
	;; [unrolled: 1-line block ×3, first 2 shown]
	v_sub_f16_e32 v27, v11, v18
	v_add_f16_e32 v23, v30, v51
	v_add_f16_e32 v11, v19, v11
	;; [unrolled: 1-line block ×3, first 2 shown]
	v_sub_f16_e32 v24, v30, v51
	v_add_f16_e32 v30, v12, v17
	v_sub_f16_e32 v32, v12, v17
	v_add_f16_e32 v11, v11, v12
	v_add_f16_e32 v12, v19, v44
	;; [unrolled: 1-line block ×3, first 2 shown]
	v_sub_f16_e32 v6, v6, v21
	v_add_f16_e32 v26, v43, v50
	v_add_f16_e32 v11, v11, v13
	;; [unrolled: 1-line block ×3, first 2 shown]
	v_sub_f16_e32 v28, v43, v50
	v_sub_f16_e32 v33, v44, v49
	v_sub_f16_e32 v37, v13, v16
	v_sub_f16_e32 v38, v45, v48
	v_sub_f16_e32 v41, v14, v15
	v_sub_f16_e32 v42, v46, v47
	v_mul_f16_e32 v20, 0xb853, v24
	v_mul_f16_e32 v43, 0xb853, v6
	;; [unrolled: 1-line block ×10, first 2 shown]
	v_add_f16_e32 v11, v11, v14
	v_add_f16_e32 v12, v12, v46
	;; [unrolled: 1-line block ×7, first 2 shown]
	v_mul_f16_e32 v58, 0xbb47, v28
	v_mul_f16_e32 v59, 0xbb47, v27
	v_mul_f16_e32 v60, 0xba0c, v28
	v_mul_f16_e32 v61, 0xba0c, v27
	v_mul_f16_e32 v62, 0x3482, v28
	v_mul_f16_e32 v63, 0x3482, v27
	v_mul_f16_e32 v64, 0x3beb, v28
	v_mul_f16_e32 v65, 0x3beb, v27
	v_mul_f16_e32 v28, 0x3853, v28
	v_mul_f16_e32 v27, 0x3853, v27
	v_mul_f16_e32 v66, 0xbbeb, v33
	v_mul_f16_e32 v67, 0xbbeb, v32
	v_mul_f16_e32 v68, 0x3482, v33
	v_mul_f16_e32 v69, 0x3482, v32
	v_mul_f16_e32 v70, 0x3b47, v33
	v_mul_f16_e32 v71, 0x3b47, v32
	v_mul_f16_e32 v72, 0xb853, v33
	v_mul_f16_e32 v73, 0xb853, v32
	v_mul_f16_e32 v33, 0xba0c, v33
	v_mul_f16_e32 v32, 0xba0c, v32
	v_mul_f16_e32 v74, 0xba0c, v38
	v_mul_f16_e32 v75, 0xba0c, v37
	v_mul_f16_e32 v76, 0x3beb, v38
	v_mul_f16_e32 v77, 0x3beb, v37
	v_mul_f16_e32 v78, 0xb853, v38
	v_mul_f16_e32 v79, 0xb853, v37
	v_mul_f16_e32 v80, 0xb482, v38
	v_mul_f16_e32 v81, 0xb482, v37
	v_mul_f16_e32 v38, 0x3b47, v38
	v_mul_f16_e32 v37, 0x3b47, v37
	v_mul_f16_e32 v82, 0xb482, v42
	v_mul_f16_e32 v83, 0xb482, v41
	v_mul_f16_e32 v84, 0x3853, v42
	v_mul_f16_e32 v85, 0x3853, v41
	v_mul_f16_e32 v86, 0xba0c, v42
	v_mul_f16_e32 v87, 0xba0c, v41
	v_mul_f16_e32 v88, 0x3b47, v42
	v_mul_f16_e32 v89, 0x3b47, v41
	v_mul_f16_e32 v42, 0xbbeb, v42
	v_mul_f16_e32 v41, 0xbbeb, v41
	v_fma_f16 v19, v22, 0x3abb, -v20
	v_fmamk_f16 v44, v23, 0x3abb, v43
	v_fmac_f16_e32 v20, 0x3abb, v22
	v_fma_f16 v43, v23, 0x3abb, -v43
	v_fma_f16 v90, v22, 0x36a6, -v52
	v_fmamk_f16 v91, v23, 0x36a6, v53
	v_fmac_f16_e32 v52, 0x36a6, v22
	v_fma_f16 v53, v23, 0x36a6, -v53
	;; [unrolled: 4-line block ×5, first 2 shown]
	v_add_f16_e32 v11, v11, v15
	v_add_f16_e32 v12, v12, v47
	v_fma_f16 v22, v25, 0x36a6, -v58
	v_fmamk_f16 v23, v26, 0x36a6, v59
	v_fmac_f16_e32 v58, 0x36a6, v25
	v_fma_f16 v59, v26, 0x36a6, -v59
	v_fma_f16 v98, v25, 0xb93d, -v60
	v_fmamk_f16 v99, v26, 0xb93d, v61
	v_fmac_f16_e32 v60, 0xb93d, v25
	v_fma_f16 v61, v26, 0xb93d, -v61
	;; [unrolled: 4-line block ×19, first 2 shown]
	v_fma_f16 v128, v39, 0xb08e, -v42
	v_fma_f16 v129, 0xb08e, v40, v41
	v_fmac_f16_e32 v42, 0xb08e, v39
	v_fma_f16 v39, v40, 0xb08e, -v41
	v_add_f16_e32 v13, v19, v5
	v_add_f16_e32 v19, v44, v34
	;; [unrolled: 1-line block ×102, first 2 shown]
	v_add_f16_e64 v32, v128, v33
	v_add_f16_e64 v33, v129, v34
	v_add_f16_e32 v5, v42, v5
	v_add_f16_e32 v6, v39, v6
	;; [unrolled: 1-line block ×4, first 2 shown]
	v_lshlrev_b32_e32 v12, 16, v12
	v_and_b32_e32 v11, 0xffff, v11
	v_pack_b32_f16 v13, v13, v14
	v_pack_b32_f16 v14, v17, v19
	;; [unrolled: 1-line block ×10, first 2 shown]
	v_or_b32_e32 v11, v12, v11
	ds_store_2addr_b32 v29, v14, v17 offset0:26 offset1:39
	ds_store_2addr_b32 v29, v18, v19 offset0:52 offset1:65
	;; [unrolled: 1-line block ×4, first 2 shown]
	ds_store_b32 v29, v15 offset:520
	ds_store_2addr_b32 v29, v11, v13 offset1:13
	global_wb scope:SCOPE_SE
	s_wait_dscnt 0x0
	s_barrier_signal -1
	s_barrier_wait -1
	global_inv scope:SCOPE_SE
	s_and_saveexec_b32 s0, vcc_lo
	s_cbranch_execz .LBB0_17
; %bb.16:
	v_mul_u32_u24_e32 v4, 10, v4
	v_lshlrev_b64_e32 v[1:2], 2, v[1:2]
	s_delay_alu instid0(VALU_DEP_2)
	v_lshlrev_b32_e32 v4, 2, v4
	s_clause 0x2
	global_load_b64 v[19:20], v4, s[4:5] offset:552
	global_load_b128 v[11:14], v4, s[4:5] offset:520
	global_load_b128 v[15:18], v4, s[4:5] offset:536
	ds_load_b32 v27, v8 offset:5720
	ds_load_2addr_b32 v[5:6], v8 offset1:143
	ds_load_2addr_b32 v[8:9], v9 offset0:56 offset1:199
	ds_load_2addr_b32 v[21:22], v10 offset0:30 offset1:173
	;; [unrolled: 1-line block ×4, first 2 shown]
	v_mov_b32_e32 v4, 0
	v_add_co_u32 v0, vcc_lo, s8, v1
	s_wait_alu 0xfffd
	v_add_co_ci_u32_e32 v1, vcc_lo, s9, v2, vcc_lo
	s_delay_alu instid0(VALU_DEP_3) | instskip(NEXT) | instid1(VALU_DEP_1)
	v_lshlrev_b64_e32 v[3:4], 2, v[3:4]
	v_add_co_u32 v0, vcc_lo, v0, v3
	s_wait_alu 0xfffd
	s_delay_alu instid0(VALU_DEP_2)
	v_add_co_ci_u32_e32 v1, vcc_lo, v1, v4, vcc_lo
	s_wait_dscnt 0x5
	v_lshrrev_b32_e32 v2, 16, v27
	s_wait_dscnt 0x4
	v_lshrrev_b32_e32 v3, 16, v6
	;; [unrolled: 2-line block ×4, first 2 shown]
	v_lshrrev_b32_e32 v28, 16, v8
	v_lshrrev_b32_e32 v29, 16, v22
	s_wait_dscnt 0x0
	v_lshrrev_b32_e32 v31, 16, v25
	v_lshrrev_b32_e32 v32, 16, v23
	;; [unrolled: 1-line block ×5, first 2 shown]
	s_wait_loadcnt 0x2
	v_lshrrev_b32_e32 v35, 16, v20
	s_wait_loadcnt 0x1
	v_lshrrev_b32_e32 v37, 16, v11
	v_mul_f16_e32 v36, v20, v2
	v_lshrrev_b32_e32 v38, 16, v12
	v_lshrrev_b32_e32 v39, 16, v13
	;; [unrolled: 1-line block ×3, first 2 shown]
	v_mul_f16_e32 v41, v11, v3
	s_wait_loadcnt 0x0
	v_lshrrev_b32_e32 v45, 16, v16
	v_lshrrev_b32_e32 v47, 16, v18
	v_mul_f16_e32 v3, v37, v3
	v_mul_f16_e32 v2, v35, v2
	v_lshrrev_b32_e32 v34, 16, v19
	v_mul_f16_e32 v42, v19, v7
	v_mul_f16_e32 v43, v12, v10
	v_lshrrev_b32_e32 v44, 16, v15
	v_lshrrev_b32_e32 v46, 16, v17
	v_mul_f16_e32 v48, v18, v28
	v_mul_f16_e32 v49, v13, v29
	;; [unrolled: 1-line block ×5, first 2 shown]
	v_fmac_f16_e32 v36, v35, v27
	v_fmac_f16_e32 v41, v37, v6
	v_mul_f16_e32 v10, v38, v10
	v_mul_f16_e32 v29, v39, v29
	;; [unrolled: 1-line block ×5, first 2 shown]
	v_fma_f16 v3, v11, v6, -v3
	v_fma_f16 v2, v27, v20, -v2
	v_mul_f16_e32 v50, v17, v30
	v_fmac_f16_e32 v42, v34, v9
	v_fmac_f16_e32 v43, v38, v21
	v_mul_f16_e32 v7, v34, v7
	v_fmac_f16_e32 v48, v47, v8
	v_fmac_f16_e32 v49, v39, v22
	;; [unrolled: 1-line block ×3, first 2 shown]
	v_mul_f16_e32 v30, v46, v30
	v_fmac_f16_e32 v52, v45, v23
	v_fmac_f16_e32 v53, v44, v26
	v_mul_f16_e32 v33, v44, v33
	v_add_f16_e32 v34, v36, v41
	v_fma_f16 v10, v12, v21, -v10
	v_fma_f16 v11, v13, v22, -v29
	;; [unrolled: 1-line block ×5, first 2 shown]
	v_sub_f16_e32 v18, v41, v36
	v_add_f16_e32 v23, v41, v4
	v_sub_f16_e32 v25, v3, v2
	v_add_f16_e32 v35, v2, v3
	v_add_f16_e32 v3, v3, v5
	v_fmac_f16_e32 v50, v46, v24
	v_add_f16_e32 v6, v42, v43
	v_fma_f16 v7, v9, v19, -v7
	v_add_f16_e32 v9, v48, v49
	v_fma_f16 v14, v24, v17, -v30
	;; [unrolled: 2-line block ×3, first 2 shown]
	v_sub_f16_e32 v19, v43, v42
	v_mul_f16_e32 v24, 0xbbad, v34
	v_mul_f16_e32 v37, 0xb482, v18
	;; [unrolled: 1-line block ×6, first 2 shown]
	v_add_f16_e32 v23, v23, v43
	v_add_f16_e32 v3, v3, v10
	v_sub_f16_e32 v20, v49, v48
	v_sub_f16_e32 v22, v53, v52
	v_mul_f16_e32 v26, 0x3abb, v6
	v_sub_f16_e32 v27, v10, v7
	v_mul_f16_e32 v28, 0xb93d, v9
	;; [unrolled: 2-line block ×3, first 2 shown]
	v_sub_f16_e32 v33, v15, v16
	v_add_f16_e32 v38, v7, v10
	v_mul_f16_e32 v39, 0x3853, v19
	v_mul_f16_e32 v55, 0x3beb, v19
	v_mul_f16_e32 v60, 0x3482, v19
	v_mul_f16_e32 v65, 0xba0c, v19
	v_mul_f16_e32 v19, 0xbb47, v19
	v_fmamk_f16 v43, v25, 0x3482, v24
	v_fmamk_f16 v73, v35, 0xbbad, v37
	v_fmac_f16_e32 v24, 0xb482, v25
	v_fma_f16 v37, v35, 0xbbad, -v37
	v_mul_f16_e32 v78, 0xba0c, v25
	v_fma_f16 v83, v35, 0xb93d, -v54
	v_mul_f16_e32 v88, 0xbbeb, v25
	;; [unrolled: 2-line block ×4, first 2 shown]
	v_fma_f16 v108, v35, 0x3abb, -v18
	v_fmac_f16_e32 v54, 0xb93d, v35
	v_fmac_f16_e32 v59, 0xb08e, v35
	;; [unrolled: 1-line block ×4, first 2 shown]
	v_add_f16_e32 v23, v23, v49
	v_add_f16_e32 v3, v3, v11
	;; [unrolled: 1-line block ×3, first 2 shown]
	v_mul_f16_e32 v41, 0xba0c, v20
	v_add_f16_e32 v46, v16, v15
	v_mul_f16_e32 v47, 0xbbeb, v22
	v_mul_f16_e32 v56, 0xb853, v20
	;; [unrolled: 1-line block ×9, first 2 shown]
	v_fmamk_f16 v69, v27, 0xb853, v26
	v_fmamk_f16 v70, v29, 0x3a0c, v28
	v_fmamk_f16 v72, v33, 0x3beb, v32
	v_fmamk_f16 v74, v38, 0x3abb, v39
	v_fmac_f16_e32 v26, 0x3853, v27
	v_fmac_f16_e32 v28, 0xba0c, v29
	v_fmac_f16_e32 v32, 0xbbeb, v33
	v_fma_f16 v39, v38, 0x3abb, -v39
	v_mul_f16_e32 v79, 0x3beb, v27
	v_mul_f16_e32 v80, 0xb853, v29
	v_mul_f16_e32 v82, 0x3b47, v33
	v_fma_f16 v84, v38, 0xb08e, -v55
	v_mul_f16_e32 v89, 0x3482, v27
	v_mul_f16_e32 v90, 0x3b47, v29
	v_mul_f16_e32 v92, 0xba0c, v33
	;; [unrolled: 4-line block ×4, first 2 shown]
	v_fma_f16 v109, v38, 0x36a6, -v19
	v_fmac_f16_e32 v55, 0xb08e, v38
	v_fmac_f16_e32 v60, 0xbbad, v38
	;; [unrolled: 1-line block ×4, first 2 shown]
	v_add_f16_e32 v35, v73, v5
	v_add_f16_e32 v24, v24, v4
	;; [unrolled: 1-line block ×3, first 2 shown]
	v_fmamk_f16 v38, v34, 0xb93d, v78
	v_add_f16_e32 v49, v83, v5
	v_fmamk_f16 v73, v34, 0xb08e, v88
	v_add_f16_e32 v93, v93, v5
	;; [unrolled: 2-line block ×4, first 2 shown]
	v_fma_f16 v78, v34, 0xb93d, -v78
	v_add_f16_e32 v54, v54, v5
	v_fma_f16 v88, v34, 0xb08e, -v88
	v_add_f16_e32 v59, v59, v5
	;; [unrolled: 2-line block ×4, first 2 shown]
	v_add_f16_e32 v18, v23, v51
	v_add_f16_e32 v3, v3, v13
	;; [unrolled: 1-line block ×3, first 2 shown]
	v_fmamk_f16 v75, v40, 0xb93d, v41
	v_fmamk_f16 v77, v46, 0xb08e, v47
	v_fma_f16 v41, v40, 0xb93d, -v41
	v_fma_f16 v47, v46, 0xb08e, -v47
	;; [unrolled: 1-line block ×10, first 2 shown]
	v_fmac_f16_e32 v56, 0x3abb, v40
	v_fmac_f16_e32 v58, 0x36a6, v46
	;; [unrolled: 1-line block ×8, first 2 shown]
	v_add_f16_e32 v10, v43, v4
	v_fmamk_f16 v40, v6, 0xb08e, v79
	v_fmamk_f16 v43, v9, 0x3abb, v80
	v_fmamk_f16 v46, v17, 0x36a6, v82
	v_fmamk_f16 v83, v6, 0xbbad, v89
	v_fmamk_f16 v113, v9, 0x36a6, v90
	v_fmamk_f16 v115, v17, 0xb93d, v92
	v_fmamk_f16 v117, v6, 0xb93d, v99
	v_fmamk_f16 v118, v9, 0xbbad, v100
	v_fmamk_f16 v120, v17, 0x3abb, v102
	v_fmamk_f16 v122, v6, 0x36a6, v27
	v_fmamk_f16 v123, v9, 0xb08e, v29
	v_fmamk_f16 v125, v17, 0xbbad, v33
	v_fma_f16 v79, v6, 0xb08e, -v79
	v_fma_f16 v80, v9, 0x3abb, -v80
	;; [unrolled: 1-line block ×12, first 2 shown]
	v_add_f16_e32 v11, v35, v74
	v_add_f16_e32 v23, v24, v26
	;; [unrolled: 1-line block ×15, first 2 shown]
	v_sub_f16_e32 v21, v51, v50
	v_mul_f16_e32 v30, 0x36a6, v12
	v_sub_f16_e32 v31, v13, v14
	v_add_f16_e32 v4, v4, v6
	v_add_f16_e32 v6, v52, v18
	;; [unrolled: 1-line block ×4, first 2 shown]
	v_mul_f16_e32 v45, 0x3b47, v21
	v_mul_f16_e32 v57, 0xb482, v21
	;; [unrolled: 1-line block ×5, first 2 shown]
	v_fmamk_f16 v71, v31, 0xbb47, v30
	v_fmac_f16_e32 v30, 0x3b47, v31
	v_mul_f16_e32 v81, 0xb482, v31
	v_mul_f16_e32 v91, 0xb853, v31
	;; [unrolled: 1-line block ×4, first 2 shown]
	v_add_f16_e32 v6, v50, v6
	v_add_f16_e32 v3, v14, v3
	v_fmamk_f16 v76, v44, 0x36a6, v45
	v_fma_f16 v45, v44, 0x36a6, -v45
	v_fma_f16 v86, v44, 0xbbad, -v57
	;; [unrolled: 1-line block ×5, first 2 shown]
	v_fmac_f16_e32 v57, 0xbbad, v44
	v_fmac_f16_e32 v62, 0x3abb, v44
	;; [unrolled: 1-line block ×4, first 2 shown]
	v_fmamk_f16 v44, v12, 0xbbad, v81
	v_fmamk_f16 v114, v12, 0x3abb, v91
	v_fmamk_f16 v119, v12, 0xb08e, v101
	v_fmamk_f16 v124, v12, 0xb93d, v31
	v_fma_f16 v81, v12, 0xbbad, -v81
	v_fma_f16 v91, v12, 0x3abb, -v91
	;; [unrolled: 1-line block ×4, first 2 shown]
	v_add_f16_e32 v10, v10, v69
	v_add_f16_e32 v31, v93, v94
	;; [unrolled: 1-line block ×69, first 2 shown]
	v_lshlrev_b32_e32 v6, 16, v6
	v_and_b32_e32 v2, 0xffff, v2
	v_add_f16_e32 v12, v15, v46
	v_add_f16_e32 v15, v23, v125
	;; [unrolled: 1-line block ×11, first 2 shown]
	v_or_b32_e32 v2, v6, v2
	v_pack_b32_f16 v9, v10, v9
	v_pack_b32_f16 v10, v24, v15
	;; [unrolled: 1-line block ×10, first 2 shown]
	s_clause 0xa
	global_store_b32 v[0:1], v2, off
	global_store_b32 v[0:1], v10, off offset:572
	global_store_b32 v[0:1], v11, off offset:1144
	;; [unrolled: 1-line block ×10, first 2 shown]
.LBB0_17:
	s_nop 0
	s_sendmsg sendmsg(MSG_DEALLOC_VGPRS)
	s_endpgm
	.section	.rodata,"a",@progbits
	.p2align	6, 0x0
	.amdhsa_kernel fft_rtc_fwd_len1573_factors_13_11_11_wgs_143_tpt_143_half_ip_CI_unitstride_sbrr_dirReg
		.amdhsa_group_segment_fixed_size 0
		.amdhsa_private_segment_fixed_size 0
		.amdhsa_kernarg_size 88
		.amdhsa_user_sgpr_count 2
		.amdhsa_user_sgpr_dispatch_ptr 0
		.amdhsa_user_sgpr_queue_ptr 0
		.amdhsa_user_sgpr_kernarg_segment_ptr 1
		.amdhsa_user_sgpr_dispatch_id 0
		.amdhsa_user_sgpr_private_segment_size 0
		.amdhsa_wavefront_size32 1
		.amdhsa_uses_dynamic_stack 0
		.amdhsa_enable_private_segment 0
		.amdhsa_system_sgpr_workgroup_id_x 1
		.amdhsa_system_sgpr_workgroup_id_y 0
		.amdhsa_system_sgpr_workgroup_id_z 0
		.amdhsa_system_sgpr_workgroup_info 0
		.amdhsa_system_vgpr_workitem_id 0
		.amdhsa_next_free_vgpr 130
		.amdhsa_next_free_sgpr 32
		.amdhsa_reserve_vcc 1
		.amdhsa_float_round_mode_32 0
		.amdhsa_float_round_mode_16_64 0
		.amdhsa_float_denorm_mode_32 3
		.amdhsa_float_denorm_mode_16_64 3
		.amdhsa_fp16_overflow 0
		.amdhsa_workgroup_processor_mode 1
		.amdhsa_memory_ordered 1
		.amdhsa_forward_progress 0
		.amdhsa_round_robin_scheduling 0
		.amdhsa_exception_fp_ieee_invalid_op 0
		.amdhsa_exception_fp_denorm_src 0
		.amdhsa_exception_fp_ieee_div_zero 0
		.amdhsa_exception_fp_ieee_overflow 0
		.amdhsa_exception_fp_ieee_underflow 0
		.amdhsa_exception_fp_ieee_inexact 0
		.amdhsa_exception_int_div_zero 0
	.end_amdhsa_kernel
	.text
.Lfunc_end0:
	.size	fft_rtc_fwd_len1573_factors_13_11_11_wgs_143_tpt_143_half_ip_CI_unitstride_sbrr_dirReg, .Lfunc_end0-fft_rtc_fwd_len1573_factors_13_11_11_wgs_143_tpt_143_half_ip_CI_unitstride_sbrr_dirReg
                                        ; -- End function
	.section	.AMDGPU.csdata,"",@progbits
; Kernel info:
; codeLenInByte = 9908
; NumSgprs: 34
; NumVgprs: 130
; ScratchSize: 0
; MemoryBound: 0
; FloatMode: 240
; IeeeMode: 1
; LDSByteSize: 0 bytes/workgroup (compile time only)
; SGPRBlocks: 4
; VGPRBlocks: 16
; NumSGPRsForWavesPerEU: 34
; NumVGPRsForWavesPerEU: 130
; Occupancy: 10
; WaveLimiterHint : 1
; COMPUTE_PGM_RSRC2:SCRATCH_EN: 0
; COMPUTE_PGM_RSRC2:USER_SGPR: 2
; COMPUTE_PGM_RSRC2:TRAP_HANDLER: 0
; COMPUTE_PGM_RSRC2:TGID_X_EN: 1
; COMPUTE_PGM_RSRC2:TGID_Y_EN: 0
; COMPUTE_PGM_RSRC2:TGID_Z_EN: 0
; COMPUTE_PGM_RSRC2:TIDIG_COMP_CNT: 0
	.text
	.p2alignl 7, 3214868480
	.fill 96, 4, 3214868480
	.type	__hip_cuid_28489365427d1c8e,@object ; @__hip_cuid_28489365427d1c8e
	.section	.bss,"aw",@nobits
	.globl	__hip_cuid_28489365427d1c8e
__hip_cuid_28489365427d1c8e:
	.byte	0                               ; 0x0
	.size	__hip_cuid_28489365427d1c8e, 1

	.ident	"AMD clang version 19.0.0git (https://github.com/RadeonOpenCompute/llvm-project roc-6.4.0 25133 c7fe45cf4b819c5991fe208aaa96edf142730f1d)"
	.section	".note.GNU-stack","",@progbits
	.addrsig
	.addrsig_sym __hip_cuid_28489365427d1c8e
	.amdgpu_metadata
---
amdhsa.kernels:
  - .args:
      - .actual_access:  read_only
        .address_space:  global
        .offset:         0
        .size:           8
        .value_kind:     global_buffer
      - .offset:         8
        .size:           8
        .value_kind:     by_value
      - .actual_access:  read_only
        .address_space:  global
        .offset:         16
        .size:           8
        .value_kind:     global_buffer
      - .actual_access:  read_only
        .address_space:  global
        .offset:         24
        .size:           8
        .value_kind:     global_buffer
      - .offset:         32
        .size:           8
        .value_kind:     by_value
      - .actual_access:  read_only
        .address_space:  global
        .offset:         40
        .size:           8
        .value_kind:     global_buffer
      - .actual_access:  read_only
        .address_space:  global
        .offset:         48
        .size:           8
        .value_kind:     global_buffer
      - .offset:         56
        .size:           4
        .value_kind:     by_value
      - .actual_access:  read_only
        .address_space:  global
        .offset:         64
        .size:           8
        .value_kind:     global_buffer
      - .actual_access:  read_only
        .address_space:  global
        .offset:         72
        .size:           8
        .value_kind:     global_buffer
      - .address_space:  global
        .offset:         80
        .size:           8
        .value_kind:     global_buffer
    .group_segment_fixed_size: 0
    .kernarg_segment_align: 8
    .kernarg_segment_size: 88
    .language:       OpenCL C
    .language_version:
      - 2
      - 0
    .max_flat_workgroup_size: 143
    .name:           fft_rtc_fwd_len1573_factors_13_11_11_wgs_143_tpt_143_half_ip_CI_unitstride_sbrr_dirReg
    .private_segment_fixed_size: 0
    .sgpr_count:     34
    .sgpr_spill_count: 0
    .symbol:         fft_rtc_fwd_len1573_factors_13_11_11_wgs_143_tpt_143_half_ip_CI_unitstride_sbrr_dirReg.kd
    .uniform_work_group_size: 1
    .uses_dynamic_stack: false
    .vgpr_count:     130
    .vgpr_spill_count: 0
    .wavefront_size: 32
    .workgroup_processor_mode: 1
amdhsa.target:   amdgcn-amd-amdhsa--gfx1201
amdhsa.version:
  - 1
  - 2
...

	.end_amdgpu_metadata
